;; amdgpu-corpus repo=ROCm/rocFFT kind=compiled arch=gfx1030 opt=O3
	.text
	.amdgcn_target "amdgcn-amd-amdhsa--gfx1030"
	.amdhsa_code_object_version 6
	.protected	fft_rtc_fwd_len672_factors_2_2_2_2_2_3_7_wgs_56_tpt_56_halfLds_half_op_CI_CI_unitstride_sbrr_C2R_dirReg ; -- Begin function fft_rtc_fwd_len672_factors_2_2_2_2_2_3_7_wgs_56_tpt_56_halfLds_half_op_CI_CI_unitstride_sbrr_C2R_dirReg
	.globl	fft_rtc_fwd_len672_factors_2_2_2_2_2_3_7_wgs_56_tpt_56_halfLds_half_op_CI_CI_unitstride_sbrr_C2R_dirReg
	.p2align	8
	.type	fft_rtc_fwd_len672_factors_2_2_2_2_2_3_7_wgs_56_tpt_56_halfLds_half_op_CI_CI_unitstride_sbrr_C2R_dirReg,@function
fft_rtc_fwd_len672_factors_2_2_2_2_2_3_7_wgs_56_tpt_56_halfLds_half_op_CI_CI_unitstride_sbrr_C2R_dirReg: ; @fft_rtc_fwd_len672_factors_2_2_2_2_2_3_7_wgs_56_tpt_56_halfLds_half_op_CI_CI_unitstride_sbrr_C2R_dirReg
; %bb.0:
	s_clause 0x2
	s_load_dwordx4 s[12:15], s[4:5], 0x0
	s_load_dwordx4 s[8:11], s[4:5], 0x58
	;; [unrolled: 1-line block ×3, first 2 shown]
	v_mul_u32_u24_e32 v1, 0x493, v0
	v_mov_b32_e32 v3, 0
	v_mov_b32_e32 v7, 0
	;; [unrolled: 1-line block ×3, first 2 shown]
	v_add_nc_u32_sdwa v9, s6, v1 dst_sel:DWORD dst_unused:UNUSED_PAD src0_sel:DWORD src1_sel:WORD_1
	v_mov_b32_e32 v10, v3
	s_waitcnt lgkmcnt(0)
	v_cmp_lt_u64_e64 s0, s[14:15], 2
	s_and_b32 vcc_lo, exec_lo, s0
	s_cbranch_vccnz .LBB0_8
; %bb.1:
	s_load_dwordx2 s[0:1], s[4:5], 0x10
	v_mov_b32_e32 v7, 0
	v_mov_b32_e32 v8, 0
	s_add_u32 s2, s18, 8
	s_addc_u32 s3, s19, 0
	v_mov_b32_e32 v1, v7
	s_add_u32 s6, s16, 8
	v_mov_b32_e32 v2, v8
	s_addc_u32 s7, s17, 0
	s_mov_b64 s[22:23], 1
	s_waitcnt lgkmcnt(0)
	s_add_u32 s20, s0, 8
	s_addc_u32 s21, s1, 0
.LBB0_2:                                ; =>This Inner Loop Header: Depth=1
	s_load_dwordx2 s[24:25], s[20:21], 0x0
                                        ; implicit-def: $vgpr5_vgpr6
	s_mov_b32 s0, exec_lo
	s_waitcnt lgkmcnt(0)
	v_or_b32_e32 v4, s25, v10
	v_cmpx_ne_u64_e32 0, v[3:4]
	s_xor_b32 s1, exec_lo, s0
	s_cbranch_execz .LBB0_4
; %bb.3:                                ;   in Loop: Header=BB0_2 Depth=1
	v_cvt_f32_u32_e32 v4, s24
	v_cvt_f32_u32_e32 v5, s25
	s_sub_u32 s0, 0, s24
	s_subb_u32 s26, 0, s25
	v_fmac_f32_e32 v4, 0x4f800000, v5
	v_rcp_f32_e32 v4, v4
	v_mul_f32_e32 v4, 0x5f7ffffc, v4
	v_mul_f32_e32 v5, 0x2f800000, v4
	v_trunc_f32_e32 v5, v5
	v_fmac_f32_e32 v4, 0xcf800000, v5
	v_cvt_u32_f32_e32 v5, v5
	v_cvt_u32_f32_e32 v4, v4
	v_mul_lo_u32 v6, s0, v5
	v_mul_hi_u32 v11, s0, v4
	v_mul_lo_u32 v12, s26, v4
	v_add_nc_u32_e32 v6, v11, v6
	v_mul_lo_u32 v11, s0, v4
	v_add_nc_u32_e32 v6, v6, v12
	v_mul_hi_u32 v12, v4, v11
	v_mul_lo_u32 v13, v4, v6
	v_mul_hi_u32 v14, v4, v6
	v_mul_hi_u32 v15, v5, v11
	v_mul_lo_u32 v11, v5, v11
	v_mul_hi_u32 v16, v5, v6
	v_mul_lo_u32 v6, v5, v6
	v_add_co_u32 v12, vcc_lo, v12, v13
	v_add_co_ci_u32_e32 v13, vcc_lo, 0, v14, vcc_lo
	v_add_co_u32 v11, vcc_lo, v12, v11
	v_add_co_ci_u32_e32 v11, vcc_lo, v13, v15, vcc_lo
	v_add_co_ci_u32_e32 v12, vcc_lo, 0, v16, vcc_lo
	v_add_co_u32 v6, vcc_lo, v11, v6
	v_add_co_ci_u32_e32 v11, vcc_lo, 0, v12, vcc_lo
	v_add_co_u32 v4, vcc_lo, v4, v6
	v_add_co_ci_u32_e32 v5, vcc_lo, v5, v11, vcc_lo
	v_mul_hi_u32 v6, s0, v4
	v_mul_lo_u32 v12, s26, v4
	v_mul_lo_u32 v11, s0, v5
	v_add_nc_u32_e32 v6, v6, v11
	v_mul_lo_u32 v11, s0, v4
	v_add_nc_u32_e32 v6, v6, v12
	v_mul_hi_u32 v12, v4, v11
	v_mul_lo_u32 v13, v4, v6
	v_mul_hi_u32 v14, v4, v6
	v_mul_hi_u32 v15, v5, v11
	v_mul_lo_u32 v11, v5, v11
	v_mul_hi_u32 v16, v5, v6
	v_mul_lo_u32 v6, v5, v6
	v_add_co_u32 v12, vcc_lo, v12, v13
	v_add_co_ci_u32_e32 v13, vcc_lo, 0, v14, vcc_lo
	v_add_co_u32 v11, vcc_lo, v12, v11
	v_add_co_ci_u32_e32 v11, vcc_lo, v13, v15, vcc_lo
	v_add_co_ci_u32_e32 v12, vcc_lo, 0, v16, vcc_lo
	v_add_co_u32 v6, vcc_lo, v11, v6
	v_add_co_ci_u32_e32 v11, vcc_lo, 0, v12, vcc_lo
	v_add_co_u32 v6, vcc_lo, v4, v6
	v_add_co_ci_u32_e32 v13, vcc_lo, v5, v11, vcc_lo
	v_mul_hi_u32 v15, v9, v6
	v_mad_u64_u32 v[11:12], null, v10, v6, 0
	v_mad_u64_u32 v[4:5], null, v9, v13, 0
	;; [unrolled: 1-line block ×3, first 2 shown]
	v_add_co_u32 v4, vcc_lo, v15, v4
	v_add_co_ci_u32_e32 v5, vcc_lo, 0, v5, vcc_lo
	v_add_co_u32 v4, vcc_lo, v4, v11
	v_add_co_ci_u32_e32 v4, vcc_lo, v5, v12, vcc_lo
	v_add_co_ci_u32_e32 v5, vcc_lo, 0, v14, vcc_lo
	v_add_co_u32 v11, vcc_lo, v4, v13
	v_add_co_ci_u32_e32 v6, vcc_lo, 0, v5, vcc_lo
	v_mul_lo_u32 v12, s25, v11
	v_mad_u64_u32 v[4:5], null, s24, v11, 0
	v_mul_lo_u32 v13, s24, v6
	v_sub_co_u32 v4, vcc_lo, v9, v4
	v_add3_u32 v5, v5, v13, v12
	v_sub_nc_u32_e32 v12, v10, v5
	v_subrev_co_ci_u32_e64 v12, s0, s25, v12, vcc_lo
	v_add_co_u32 v13, s0, v11, 2
	v_add_co_ci_u32_e64 v14, s0, 0, v6, s0
	v_sub_co_u32 v15, s0, v4, s24
	v_sub_co_ci_u32_e32 v5, vcc_lo, v10, v5, vcc_lo
	v_subrev_co_ci_u32_e64 v12, s0, 0, v12, s0
	v_cmp_le_u32_e32 vcc_lo, s24, v15
	v_cmp_eq_u32_e64 s0, s25, v5
	v_cndmask_b32_e64 v15, 0, -1, vcc_lo
	v_cmp_le_u32_e32 vcc_lo, s25, v12
	v_cndmask_b32_e64 v16, 0, -1, vcc_lo
	v_cmp_le_u32_e32 vcc_lo, s24, v4
	;; [unrolled: 2-line block ×3, first 2 shown]
	v_cndmask_b32_e64 v17, 0, -1, vcc_lo
	v_cmp_eq_u32_e32 vcc_lo, s25, v12
	v_cndmask_b32_e64 v4, v17, v4, s0
	v_cndmask_b32_e32 v12, v16, v15, vcc_lo
	v_add_co_u32 v15, vcc_lo, v11, 1
	v_add_co_ci_u32_e32 v16, vcc_lo, 0, v6, vcc_lo
	v_cmp_ne_u32_e32 vcc_lo, 0, v12
	v_cndmask_b32_e32 v5, v16, v14, vcc_lo
	v_cndmask_b32_e32 v12, v15, v13, vcc_lo
	v_cmp_ne_u32_e32 vcc_lo, 0, v4
	v_cndmask_b32_e32 v6, v6, v5, vcc_lo
	v_cndmask_b32_e32 v5, v11, v12, vcc_lo
.LBB0_4:                                ;   in Loop: Header=BB0_2 Depth=1
	s_andn2_saveexec_b32 s0, s1
	s_cbranch_execz .LBB0_6
; %bb.5:                                ;   in Loop: Header=BB0_2 Depth=1
	v_cvt_f32_u32_e32 v4, s24
	s_sub_i32 s1, 0, s24
	v_rcp_iflag_f32_e32 v4, v4
	v_mul_f32_e32 v4, 0x4f7ffffe, v4
	v_cvt_u32_f32_e32 v4, v4
	v_mul_lo_u32 v5, s1, v4
	v_mul_hi_u32 v5, v4, v5
	v_add_nc_u32_e32 v4, v4, v5
	v_mul_hi_u32 v4, v9, v4
	v_mul_lo_u32 v5, v4, s24
	v_add_nc_u32_e32 v6, 1, v4
	v_sub_nc_u32_e32 v5, v9, v5
	v_subrev_nc_u32_e32 v11, s24, v5
	v_cmp_le_u32_e32 vcc_lo, s24, v5
	v_cndmask_b32_e32 v5, v5, v11, vcc_lo
	v_cndmask_b32_e32 v4, v4, v6, vcc_lo
	v_cmp_le_u32_e32 vcc_lo, s24, v5
	v_add_nc_u32_e32 v6, 1, v4
	v_cndmask_b32_e32 v5, v4, v6, vcc_lo
	v_mov_b32_e32 v6, v3
.LBB0_6:                                ;   in Loop: Header=BB0_2 Depth=1
	s_or_b32 exec_lo, exec_lo, s0
	v_mul_lo_u32 v4, v6, s24
	v_mul_lo_u32 v13, v5, s25
	s_load_dwordx2 s[0:1], s[6:7], 0x0
	v_mad_u64_u32 v[11:12], null, v5, s24, 0
	s_load_dwordx2 s[24:25], s[2:3], 0x0
	s_add_u32 s22, s22, 1
	s_addc_u32 s23, s23, 0
	s_add_u32 s2, s2, 8
	s_addc_u32 s3, s3, 0
	s_add_u32 s6, s6, 8
	v_add3_u32 v4, v12, v13, v4
	v_sub_co_u32 v9, vcc_lo, v9, v11
	s_addc_u32 s7, s7, 0
	s_add_u32 s20, s20, 8
	v_sub_co_ci_u32_e32 v4, vcc_lo, v10, v4, vcc_lo
	s_addc_u32 s21, s21, 0
	s_waitcnt lgkmcnt(0)
	v_mul_lo_u32 v10, s0, v4
	v_mul_lo_u32 v11, s1, v9
	v_mad_u64_u32 v[7:8], null, s0, v9, v[7:8]
	v_mul_lo_u32 v4, s24, v4
	v_mul_lo_u32 v12, s25, v9
	v_mad_u64_u32 v[1:2], null, s24, v9, v[1:2]
	v_cmp_ge_u64_e64 s0, s[22:23], s[14:15]
	v_add3_u32 v8, v11, v8, v10
	v_add3_u32 v2, v12, v2, v4
	s_and_b32 vcc_lo, exec_lo, s0
	s_cbranch_vccnz .LBB0_9
; %bb.7:                                ;   in Loop: Header=BB0_2 Depth=1
	v_mov_b32_e32 v10, v6
	v_mov_b32_e32 v9, v5
	s_branch .LBB0_2
.LBB0_8:
	v_mov_b32_e32 v1, v7
	v_mov_b32_e32 v5, v9
	;; [unrolled: 1-line block ×4, first 2 shown]
.LBB0_9:
	s_load_dwordx2 s[0:1], s[4:5], 0x28
	v_mul_hi_u32 v4, 0x4924925, v0
	s_lshl_b64 s[4:5], s[14:15], 3
                                        ; implicit-def: $vgpr3
	s_add_u32 s2, s18, s4
	s_addc_u32 s3, s19, s5
	s_waitcnt lgkmcnt(0)
	v_cmp_gt_u64_e32 vcc_lo, s[0:1], v[5:6]
	v_cmp_le_u64_e64 s0, s[0:1], v[5:6]
	s_and_saveexec_b32 s1, s0
	s_xor_b32 s0, exec_lo, s1
; %bb.10:
	v_mul_u32_u24_e32 v3, 56, v4
                                        ; implicit-def: $vgpr4
                                        ; implicit-def: $vgpr7_vgpr8
	v_sub_nc_u32_e32 v3, v0, v3
                                        ; implicit-def: $vgpr0
; %bb.11:
	s_or_saveexec_b32 s1, s0
	s_load_dwordx2 s[2:3], s[2:3], 0x0
	s_xor_b32 exec_lo, exec_lo, s1
	s_cbranch_execz .LBB0_15
; %bb.12:
	s_add_u32 s4, s16, s4
	s_addc_u32 s5, s17, s5
	v_lshlrev_b64 v[7:8], 2, v[7:8]
	s_load_dwordx2 s[4:5], s[4:5], 0x0
	s_waitcnt lgkmcnt(0)
	v_mul_lo_u32 v3, s5, v5
	v_mul_lo_u32 v11, s4, v6
	v_mad_u64_u32 v[9:10], null, s4, v5, 0
	s_mov_b32 s4, exec_lo
	v_add3_u32 v10, v10, v11, v3
	v_mul_u32_u24_e32 v3, 56, v4
	v_lshlrev_b64 v[9:10], 2, v[9:10]
	v_sub_nc_u32_e32 v3, v0, v3
	v_lshlrev_b32_e32 v11, 2, v3
	v_add_co_u32 v0, s0, s8, v9
	v_add_co_ci_u32_e64 v4, s0, s9, v10, s0
	v_add_co_u32 v0, s0, v0, v7
	v_add_co_ci_u32_e64 v4, s0, v4, v8, s0
	;; [unrolled: 2-line block ×4, first 2 shown]
	s_clause 0xb
	global_load_dword v12, v[7:8], off
	global_load_dword v13, v[7:8], off offset:224
	global_load_dword v14, v[7:8], off offset:448
	;; [unrolled: 1-line block ×11, first 2 shown]
	v_add_nc_u32_e32 v10, 0, v11
	s_waitcnt vmcnt(10)
	ds_write2_b32 v10, v12, v13 offset1:56
	s_waitcnt vmcnt(8)
	ds_write2_b32 v10, v14, v15 offset0:112 offset1:168
	v_add_nc_u32_e32 v11, 0x200, v10
	v_add_nc_u32_e32 v21, 0x400, v10
	;; [unrolled: 1-line block ×3, first 2 shown]
	s_waitcnt vmcnt(6)
	ds_write2_b32 v11, v16, v17 offset0:96 offset1:152
	s_waitcnt vmcnt(4)
	ds_write2_b32 v21, v18, v19 offset0:80 offset1:136
	;; [unrolled: 2-line block ×4, first 2 shown]
	v_cmpx_eq_u32_e32 55, v3
	s_cbranch_execz .LBB0_14
; %bb.13:
	v_add_co_u32 v3, s0, 0x800, v0
	v_add_co_ci_u32_e64 v4, s0, 0, v4, s0
	global_load_dword v0, v[3:4], off offset:640
	v_mov_b32_e32 v4, 0
	v_mov_b32_e32 v3, 55
	s_waitcnt vmcnt(0)
	ds_write_b32 v4, v0 offset:2688
.LBB0_14:
	s_or_b32 exec_lo, exec_lo, s4
.LBB0_15:
	s_or_b32 exec_lo, exec_lo, s1
	v_lshlrev_b32_e32 v4, 2, v3
	s_waitcnt lgkmcnt(0)
	s_barrier
	buffer_gl0_inv
	s_add_u32 s1, s12, 0xa78
	v_add_nc_u32_e32 v0, 0, v4
	v_sub_nc_u32_e32 v10, 0, v4
	s_addc_u32 s4, s13, 0
	s_mov_b32 s5, exec_lo
                                        ; implicit-def: $vgpr7_vgpr8
	ds_read_u16 v12, v0
	ds_read_u16 v13, v10 offset:2688
	s_waitcnt lgkmcnt(0)
	v_add_f16_e32 v11, v13, v12
	v_sub_f16_e32 v9, v12, v13
	v_cmpx_ne_u32_e32 0, v3
	s_xor_b32 s5, exec_lo, s5
	s_cbranch_execz .LBB0_17
; %bb.16:
	v_mov_b32_e32 v4, 0
	v_add_f16_e32 v11, v13, v12
	v_sub_f16_e32 v12, v12, v13
	v_lshlrev_b64 v[7:8], 2, v[3:4]
	v_add_co_u32 v7, s0, s1, v7
	v_add_co_ci_u32_e64 v8, s0, s4, v8, s0
	global_load_dword v7, v[7:8], off
	ds_read_u16 v8, v10 offset:2690
	ds_read_u16 v9, v0 offset:2
	s_waitcnt lgkmcnt(0)
	v_add_f16_e32 v13, v8, v9
	v_sub_f16_e32 v8, v9, v8
	s_waitcnt vmcnt(0)
	v_lshrrev_b32_e32 v14, 16, v7
	v_fma_f16 v15, -v12, v14, v11
	v_fma_f16 v16, v13, v14, -v8
	v_fma_f16 v9, v13, v14, v8
	v_fma_f16 v11, v12, v14, v11
	v_fmac_f16_e32 v15, v7, v13
	v_fmac_f16_e32 v16, v12, v7
	;; [unrolled: 1-line block ×3, first 2 shown]
	v_fma_f16 v11, -v7, v13, v11
	v_mov_b32_e32 v8, v4
	v_mov_b32_e32 v7, v3
	v_pack_b32_f16 v12, v15, v16
	ds_write_b32 v10, v12 offset:2688
.LBB0_17:
	s_andn2_saveexec_b32 s0, s5
	s_cbranch_execz .LBB0_19
; %bb.18:
	v_mov_b32_e32 v4, 0
	ds_read_b32 v7, v4 offset:1344
	s_waitcnt lgkmcnt(0)
	v_pk_mul_f16 v12, 0xc0004000, v7
	v_mov_b32_e32 v7, 0
	v_mov_b32_e32 v8, 0
	ds_write_b32 v4, v12 offset:1344
.LBB0_19:
	s_or_b32 exec_lo, exec_lo, s0
	v_lshlrev_b64 v[7:8], 2, v[7:8]
	v_add_nc_u32_e32 v21, 0x400, v0
	v_add_nc_u32_e32 v22, 0x200, v0
	v_and_b32_e32 v27, 1, v3
	v_add_nc_u32_e32 v20, 0xe0, v3
	v_add_nc_u32_e32 v25, 0x118, v3
	v_add_co_u32 v7, s0, s1, v7
	v_add_co_ci_u32_e64 v8, s0, s4, v8, s0
	v_lshl_add_u32 v26, v3, 2, v0
	v_lshlrev_b32_e32 v33, 2, v27
	v_lshl_add_u32 v31, v20, 3, 0
	s_clause 0x4
	global_load_dword v4, v[7:8], off offset:224
	global_load_dword v12, v[7:8], off offset:448
	;; [unrolled: 1-line block ×5, first 2 shown]
	v_perm_b32 v8, v9, v11, 0x5040100
	v_lshl_add_u32 v32, v25, 3, 0
	v_lshlrev_b32_e32 v20, 1, v20
	v_cmp_gt_u32_e64 s0, 40, v3
	ds_write_b32 v0, v8
	ds_read_b32 v8, v0 offset:224
	ds_read_b32 v9, v10 offset:2464
	s_waitcnt lgkmcnt(0)
	v_add_f16_e32 v11, v8, v9
	v_add_f16_sdwa v15, v9, v8 dst_sel:DWORD dst_unused:UNUSED_PAD src0_sel:WORD_1 src1_sel:WORD_1
	v_sub_f16_e32 v16, v8, v9
	v_sub_f16_sdwa v8, v8, v9 dst_sel:DWORD dst_unused:UNUSED_PAD src0_sel:WORD_1 src1_sel:WORD_1
	s_waitcnt vmcnt(4)
	v_lshrrev_b32_e32 v17, 16, v4
	v_fma_f16 v9, v16, v17, v11
	v_fma_f16 v18, v15, v17, v8
	v_fma_f16 v11, -v16, v17, v11
	v_fma_f16 v8, v15, v17, -v8
	v_fma_f16 v9, -v4, v15, v9
	v_fmac_f16_e32 v18, v16, v4
	v_fmac_f16_e32 v11, v4, v15
	;; [unrolled: 1-line block ×3, first 2 shown]
	v_pack_b32_f16 v4, v9, v18
	s_waitcnt vmcnt(3)
	v_lshrrev_b32_e32 v9, 16, v12
	v_pack_b32_f16 v8, v11, v8
	ds_write_b32 v0, v4 offset:224
	ds_write_b32 v10, v8 offset:2464
	ds_read_b32 v4, v0 offset:448
	ds_read_b32 v8, v10 offset:2240
	s_waitcnt lgkmcnt(0)
	v_add_f16_e32 v11, v4, v8
	v_add_f16_sdwa v15, v8, v4 dst_sel:DWORD dst_unused:UNUSED_PAD src0_sel:WORD_1 src1_sel:WORD_1
	v_sub_f16_e32 v16, v4, v8
	v_sub_f16_sdwa v4, v4, v8 dst_sel:DWORD dst_unused:UNUSED_PAD src0_sel:WORD_1 src1_sel:WORD_1
	v_fma_f16 v8, v16, v9, v11
	v_fma_f16 v17, v15, v9, v4
	v_fma_f16 v11, -v16, v9, v11
	v_fma_f16 v4, v15, v9, -v4
	s_waitcnt vmcnt(2)
	v_lshrrev_b32_e32 v9, 16, v13
	v_fma_f16 v8, -v12, v15, v8
	v_fmac_f16_e32 v17, v16, v12
	v_fmac_f16_e32 v11, v12, v15
	v_fmac_f16_e32 v4, v16, v12
	v_pack_b32_f16 v8, v8, v17
	v_pack_b32_f16 v4, v11, v4
	ds_write_b32 v0, v8 offset:448
	ds_write_b32 v10, v4 offset:2240
	ds_read_b32 v4, v0 offset:672
	ds_read_b32 v8, v10 offset:2016
	s_waitcnt lgkmcnt(0)
	v_add_f16_e32 v11, v4, v8
	v_add_f16_sdwa v12, v8, v4 dst_sel:DWORD dst_unused:UNUSED_PAD src0_sel:WORD_1 src1_sel:WORD_1
	v_sub_f16_e32 v15, v4, v8
	v_sub_f16_sdwa v4, v4, v8 dst_sel:DWORD dst_unused:UNUSED_PAD src0_sel:WORD_1 src1_sel:WORD_1
	v_fma_f16 v8, v15, v9, v11
	v_fma_f16 v16, v12, v9, v4
	v_fma_f16 v11, -v15, v9, v11
	v_fma_f16 v4, v12, v9, -v4
	s_waitcnt vmcnt(1)
	v_lshrrev_b32_e32 v9, 16, v14
	v_fma_f16 v8, -v13, v12, v8
	v_fmac_f16_e32 v16, v15, v13
	v_fmac_f16_e32 v11, v13, v12
	v_fmac_f16_e32 v4, v15, v13
	v_pack_b32_f16 v8, v8, v16
	;; [unrolled: 21-line block ×3, first 2 shown]
	v_pack_b32_f16 v4, v11, v4
	ds_write_b32 v0, v8 offset:896
	ds_write_b32 v10, v4 offset:1792
	ds_read_b32 v4, v0 offset:1120
	ds_read_b32 v8, v10 offset:1568
	s_waitcnt lgkmcnt(0)
	v_add_f16_e32 v11, v4, v8
	v_add_f16_sdwa v12, v8, v4 dst_sel:DWORD dst_unused:UNUSED_PAD src0_sel:WORD_1 src1_sel:WORD_1
	v_sub_f16_e32 v13, v4, v8
	v_sub_f16_sdwa v4, v4, v8 dst_sel:DWORD dst_unused:UNUSED_PAD src0_sel:WORD_1 src1_sel:WORD_1
	v_fma_f16 v8, v13, v9, v11
	v_fma_f16 v14, v12, v9, v4
	v_fma_f16 v11, -v13, v9, v11
	v_fma_f16 v9, v12, v9, -v4
	v_add_nc_u32_e32 v4, 56, v3
	v_fma_f16 v8, -v7, v12, v8
	v_fmac_f16_e32 v14, v13, v7
	v_fmac_f16_e32 v11, v7, v12
	;; [unrolled: 1-line block ×3, first 2 shown]
	v_lshl_add_u32 v28, v4, 3, 0
	v_pack_b32_f16 v7, v8, v14
	v_pack_b32_f16 v8, v11, v9
	v_add_nc_u32_e32 v9, 0x800, v0
	ds_write_b32 v0, v7 offset:1120
	ds_write_b32 v10, v8 offset:1568
	s_waitcnt lgkmcnt(0)
	s_barrier
	buffer_gl0_inv
	s_barrier
	buffer_gl0_inv
	ds_read2_b32 v[10:11], v0 offset1:56
	ds_read2_b32 v[12:13], v21 offset0:80 offset1:136
	ds_read2_b32 v[14:15], v0 offset0:112 offset1:168
	;; [unrolled: 1-line block ×5, first 2 shown]
	v_add_nc_u32_e32 v8, 0x70, v3
	v_add_nc_u32_e32 v7, 0xa8, v3
	s_waitcnt lgkmcnt(0)
	s_barrier
	buffer_gl0_inv
	v_lshl_add_u32 v29, v8, 3, 0
	v_lshl_add_u32 v30, v7, 3, 0
	v_pk_add_f16 v12, v10, v12 neg_lo:[0,1] neg_hi:[0,1]
	v_pk_add_f16 v13, v11, v13 neg_lo:[0,1] neg_hi:[0,1]
	;; [unrolled: 1-line block ×6, first 2 shown]
	v_pk_fma_f16 v10, v10, 2.0, v12 op_sel_hi:[1,0,1] neg_lo:[0,0,1] neg_hi:[0,0,1]
	v_pk_fma_f16 v11, v11, 2.0, v13 op_sel_hi:[1,0,1] neg_lo:[0,0,1] neg_hi:[0,0,1]
	;; [unrolled: 1-line block ×6, first 2 shown]
	ds_write2_b32 v26, v10, v12 offset1:1
	ds_write2_b32 v28, v11, v13 offset1:1
	;; [unrolled: 1-line block ×6, first 2 shown]
	s_waitcnt lgkmcnt(0)
	s_barrier
	buffer_gl0_inv
	global_load_dword v26, v33, s[12:13]
	v_lshlrev_b32_e32 v28, 1, v3
	ds_read2_b32 v[14:15], v21 offset0:80 offset1:136
	ds_read2_b32 v[10:11], v9 offset0:48 offset1:104
	v_lshlrev_b32_e32 v30, 1, v4
	v_lshlrev_b32_e32 v31, 1, v8
	v_and_or_b32 v12, 0x7c, v28, v27
	v_lshlrev_b32_e32 v32, 1, v7
	v_lshlrev_b32_e32 v33, 1, v25
	v_and_or_b32 v16, 0xfc, v30, v27
	v_and_or_b32 v17, 0x1fc, v31, v27
	v_lshl_add_u32 v35, v12, 2, 0
	ds_read2_b32 v[12:13], v21 offset0:192 offset1:248
	v_and_or_b32 v18, 0x1fc, v32, v27
	v_and_or_b32 v19, 0x3fc, v20, v27
	;; [unrolled: 1-line block ×3, first 2 shown]
	v_lshl_add_u32 v27, v16, 2, 0
	v_lshl_add_u32 v36, v17, 2, 0
	;; [unrolled: 1-line block ×5, first 2 shown]
	ds_read2_b32 v[16:17], v0 offset1:56
	ds_read2_b32 v[18:19], v0 offset0:112 offset1:168
	ds_read2_b32 v[23:24], v22 offset0:96 offset1:152
	v_and_b32_e32 v29, 3, v3
	s_waitcnt vmcnt(0) lgkmcnt(0)
	s_barrier
	buffer_gl0_inv
	v_and_b32_e32 v25, 15, v25
	v_lshlrev_b32_e32 v34, 2, v29
	v_pk_mul_f16 v45, v26, v14 op_sel:[0,1]
	v_pk_mul_f16 v40, v26, v11 op_sel:[0,1]
	;; [unrolled: 1-line block ×6, first 2 shown]
	v_pk_fma_f16 v47, v26, v14, v45 op_sel:[0,0,1] op_sel_hi:[1,1,0] neg_lo:[0,0,1] neg_hi:[0,0,1]
	v_pk_fma_f16 v14, v26, v14, v45 op_sel:[0,0,1] op_sel_hi:[1,0,0]
	v_pk_fma_f16 v46, v26, v11, v40 op_sel:[0,0,1] op_sel_hi:[1,1,0] neg_lo:[0,0,1] neg_hi:[0,0,1]
	v_pk_fma_f16 v11, v26, v11, v40 op_sel:[0,0,1] op_sel_hi:[1,0,0]
	;; [unrolled: 2-line block ×6, first 2 shown]
	v_bfi_b32 v14, 0xffff, v47, v14
	v_bfi_b32 v13, 0xffff, v41, v13
	;; [unrolled: 1-line block ×6, first 2 shown]
	v_pk_add_f16 v14, v16, v14 neg_lo:[0,1] neg_hi:[0,1]
	v_pk_add_f16 v12, v18, v12 neg_lo:[0,1] neg_hi:[0,1]
	;; [unrolled: 1-line block ×6, first 2 shown]
	v_pk_fma_f16 v16, v16, 2.0, v14 op_sel_hi:[1,0,1] neg_lo:[0,0,1] neg_hi:[0,0,1]
	v_pk_fma_f16 v18, v18, 2.0, v12 op_sel_hi:[1,0,1] neg_lo:[0,0,1] neg_hi:[0,0,1]
	v_pk_fma_f16 v17, v17, 2.0, v15 op_sel_hi:[1,0,1] neg_lo:[0,0,1] neg_hi:[0,0,1]
	v_pk_fma_f16 v19, v19, 2.0, v13 op_sel_hi:[1,0,1] neg_lo:[0,0,1] neg_hi:[0,0,1]
	v_pk_fma_f16 v23, v23, 2.0, v10 op_sel_hi:[1,0,1] neg_lo:[0,0,1] neg_hi:[0,0,1]
	v_pk_fma_f16 v24, v24, 2.0, v11 op_sel_hi:[1,0,1] neg_lo:[0,0,1] neg_hi:[0,0,1]
	ds_write2_b32 v35, v16, v14 offset1:2
	ds_write2_b32 v27, v17, v15 offset1:2
	;; [unrolled: 1-line block ×6, first 2 shown]
	s_waitcnt lgkmcnt(0)
	s_barrier
	buffer_gl0_inv
	global_load_dword v26, v34, s[12:13] offset:8
	v_and_or_b32 v12, 0x78, v28, v29
	ds_read2_b32 v[14:15], v21 offset0:80 offset1:136
	ds_read2_b32 v[10:11], v9 offset0:48 offset1:104
	v_and_or_b32 v16, 0xf8, v30, v29
	v_and_or_b32 v17, 0x1f8, v31, v29
	v_lshl_add_u32 v35, v12, 2, 0
	ds_read2_b32 v[12:13], v21 offset0:192 offset1:248
	v_and_or_b32 v18, 0x1f8, v32, v29
	v_and_or_b32 v19, 0x3f8, v20, v29
	;; [unrolled: 1-line block ×3, first 2 shown]
	v_lshl_add_u32 v29, v16, 2, 0
	v_lshl_add_u32 v36, v17, 2, 0
	v_lshl_add_u32 v37, v18, 2, 0
	v_lshl_add_u32 v38, v19, 2, 0
	v_lshl_add_u32 v39, v23, 2, 0
	ds_read2_b32 v[16:17], v0 offset1:56
	ds_read2_b32 v[18:19], v0 offset0:112 offset1:168
	ds_read2_b32 v[23:24], v22 offset0:96 offset1:152
	v_and_b32_e32 v27, 7, v3
	s_waitcnt vmcnt(0) lgkmcnt(0)
	s_barrier
	buffer_gl0_inv
	v_lshlrev_b32_e32 v34, 2, v27
	v_pk_mul_f16 v45, v26, v14 op_sel:[0,1]
	v_pk_mul_f16 v40, v26, v11 op_sel:[0,1]
	;; [unrolled: 1-line block ×6, first 2 shown]
	v_pk_fma_f16 v47, v26, v14, v45 op_sel:[0,0,1] op_sel_hi:[1,1,0] neg_lo:[0,0,1] neg_hi:[0,0,1]
	v_pk_fma_f16 v14, v26, v14, v45 op_sel:[0,0,1] op_sel_hi:[1,0,0]
	v_pk_fma_f16 v46, v26, v11, v40 op_sel:[0,0,1] op_sel_hi:[1,1,0] neg_lo:[0,0,1] neg_hi:[0,0,1]
	v_pk_fma_f16 v11, v26, v11, v40 op_sel:[0,0,1] op_sel_hi:[1,0,0]
	;; [unrolled: 2-line block ×6, first 2 shown]
	v_bfi_b32 v14, 0xffff, v47, v14
	v_bfi_b32 v13, 0xffff, v41, v13
	;; [unrolled: 1-line block ×6, first 2 shown]
	v_pk_add_f16 v14, v16, v14 neg_lo:[0,1] neg_hi:[0,1]
	v_pk_add_f16 v12, v18, v12 neg_lo:[0,1] neg_hi:[0,1]
	;; [unrolled: 1-line block ×6, first 2 shown]
	v_pk_fma_f16 v16, v16, 2.0, v14 op_sel_hi:[1,0,1] neg_lo:[0,0,1] neg_hi:[0,0,1]
	v_pk_fma_f16 v18, v18, 2.0, v12 op_sel_hi:[1,0,1] neg_lo:[0,0,1] neg_hi:[0,0,1]
	;; [unrolled: 1-line block ×6, first 2 shown]
	ds_write2_b32 v35, v16, v14 offset1:4
	ds_write2_b32 v29, v17, v15 offset1:4
	;; [unrolled: 1-line block ×6, first 2 shown]
	s_waitcnt lgkmcnt(0)
	s_barrier
	buffer_gl0_inv
	global_load_dword v26, v34, s[12:13] offset:24
	v_and_or_b32 v10, 0x70, v28, v27
	ds_read2_b32 v[14:15], v21 offset0:80 offset1:136
	ds_read2_b32 v[12:13], v21 offset0:192 offset1:248
	v_and_or_b32 v16, 0xf0, v30, v27
	v_and_or_b32 v17, 0x1f0, v31, v27
	v_lshl_add_u32 v37, v10, 2, 0
	ds_read2_b32 v[10:11], v9 offset0:48 offset1:104
	v_and_or_b32 v18, 0x1f0, v32, v27
	v_and_or_b32 v19, 0x3f0, v20, v27
	v_and_or_b32 v23, 0x2f0, v33, v27
	v_lshl_add_u32 v40, v16, 2, 0
	v_lshl_add_u32 v41, v17, 2, 0
	;; [unrolled: 1-line block ×5, first 2 shown]
	ds_read2_b32 v[16:17], v0 offset1:56
	ds_read2_b32 v[18:19], v0 offset0:112 offset1:168
	ds_read2_b32 v[23:24], v22 offset0:96 offset1:152
	v_and_b32_e32 v29, 15, v3
	v_and_b32_e32 v36, 15, v7
	;; [unrolled: 1-line block ×3, first 2 shown]
	v_lshlrev_b32_e32 v39, 2, v25
	s_waitcnt vmcnt(0) lgkmcnt(0)
	v_lshlrev_b32_e32 v34, 2, v29
	v_lshlrev_b32_e32 v38, 2, v36
	;; [unrolled: 1-line block ×3, first 2 shown]
	s_barrier
	buffer_gl0_inv
	v_pk_mul_f16 v50, v26, v14 op_sel:[0,1]
	v_pk_mul_f16 v45, v26, v11 op_sel:[0,1]
	v_pk_mul_f16 v46, v26, v10 op_sel:[0,1]
	v_pk_mul_f16 v47, v26, v13 op_sel:[0,1]
	v_pk_mul_f16 v48, v26, v12 op_sel:[0,1]
	v_pk_mul_f16 v49, v26, v15 op_sel:[0,1]
	v_pk_fma_f16 v52, v26, v14, v50 op_sel:[0,0,1] op_sel_hi:[1,1,0] neg_lo:[0,0,1] neg_hi:[0,0,1]
	v_pk_fma_f16 v14, v26, v14, v50 op_sel:[0,0,1] op_sel_hi:[1,0,0]
	v_pk_fma_f16 v51, v26, v11, v45 op_sel:[0,0,1] op_sel_hi:[1,1,0] neg_lo:[0,0,1] neg_hi:[0,0,1]
	v_pk_fma_f16 v11, v26, v11, v45 op_sel:[0,0,1] op_sel_hi:[1,0,0]
	;; [unrolled: 2-line block ×6, first 2 shown]
	v_bfi_b32 v14, 0xffff, v52, v14
	v_bfi_b32 v13, 0xffff, v46, v13
	;; [unrolled: 1-line block ×6, first 2 shown]
	v_pk_add_f16 v14, v16, v14 neg_lo:[0,1] neg_hi:[0,1]
	v_pk_add_f16 v12, v18, v12 neg_lo:[0,1] neg_hi:[0,1]
	;; [unrolled: 1-line block ×6, first 2 shown]
	v_pk_fma_f16 v16, v16, 2.0, v14 op_sel_hi:[1,0,1] neg_lo:[0,0,1] neg_hi:[0,0,1]
	v_pk_fma_f16 v18, v18, 2.0, v12 op_sel_hi:[1,0,1] neg_lo:[0,0,1] neg_hi:[0,0,1]
	v_pk_fma_f16 v17, v17, 2.0, v15 op_sel_hi:[1,0,1] neg_lo:[0,0,1] neg_hi:[0,0,1]
	v_pk_fma_f16 v19, v19, 2.0, v13 op_sel_hi:[1,0,1] neg_lo:[0,0,1] neg_hi:[0,0,1]
	v_pk_fma_f16 v23, v23, 2.0, v10 op_sel_hi:[1,0,1] neg_lo:[0,0,1] neg_hi:[0,0,1]
	v_pk_fma_f16 v24, v24, 2.0, v11 op_sel_hi:[1,0,1] neg_lo:[0,0,1] neg_hi:[0,0,1]
	ds_write2_b32 v37, v16, v14 offset1:8
	ds_write2_b32 v40, v17, v15 offset1:8
	;; [unrolled: 1-line block ×6, first 2 shown]
	s_waitcnt lgkmcnt(0)
	s_barrier
	buffer_gl0_inv
	s_clause 0x3
	global_load_dword v26, v39, s[12:13] offset:56
	global_load_dword v34, v34, s[12:13] offset:56
	;; [unrolled: 1-line block ×4, first 2 shown]
	v_and_or_b32 v10, 0x60, v28, v29
	ds_read2_b32 v[12:13], v21 offset0:192 offset1:248
	ds_read2_b32 v[14:15], v21 offset0:80 offset1:136
	v_and_or_b32 v16, 0xe0, v30, v35
	v_and_or_b32 v17, 0x1e0, v31, v29
	v_lshl_add_u32 v41, v10, 2, 0
	ds_read2_b32 v[10:11], v9 offset0:48 offset1:104
	v_and_or_b32 v18, 0x1e0, v32, v36
	v_and_or_b32 v19, 0x3e0, v20, v29
	v_lshl_add_u32 v29, v16, 2, 0
	v_lshl_add_u32 v30, v17, 2, 0
	v_and_or_b32 v20, 0x2e0, v33, v25
	v_lshl_add_u32 v31, v18, 2, 0
	v_lshl_add_u32 v32, v19, 2, 0
	ds_read2_b32 v[16:17], v0 offset1:56
	ds_read2_b32 v[18:19], v0 offset0:112 offset1:168
	ds_read2_b32 v[23:24], v22 offset0:96 offset1:152
	v_and_b32_e32 v38, 31, v3
	v_and_b32_e32 v39, 31, v4
	;; [unrolled: 1-line block ×3, first 2 shown]
	v_lshl_add_u32 v20, v20, 2, 0
	s_waitcnt vmcnt(0) lgkmcnt(0)
	v_lshlrev_b32_e32 v28, 3, v38
	s_barrier
	buffer_gl0_inv
	v_lshlrev_b32_e32 v25, 3, v39
	v_pk_mul_f16 v33, v26, v11 op_sel:[0,1]
	v_pk_mul_f16 v44, v34, v14 op_sel:[0,1]
	;; [unrolled: 1-line block ×6, first 2 shown]
	v_pk_fma_f16 v45, v26, v11, v33 op_sel:[0,0,1] op_sel_hi:[1,1,0] neg_lo:[0,0,1] neg_hi:[0,0,1]
	v_pk_fma_f16 v11, v26, v11, v33 op_sel:[0,0,1] op_sel_hi:[1,0,0]
	v_pk_fma_f16 v33, v37, v13, v36 op_sel:[0,0,1] op_sel_hi:[1,1,0] neg_lo:[0,0,1] neg_hi:[0,0,1]
	v_pk_fma_f16 v13, v37, v13, v36 op_sel:[0,0,1] op_sel_hi:[1,0,0]
	;; [unrolled: 2-line block ×6, first 2 shown]
	v_bfi_b32 v14, 0xffff, v37, v14
	v_bfi_b32 v15, 0xffff, v36, v15
	;; [unrolled: 1-line block ×6, first 2 shown]
	v_pk_add_f16 v14, v16, v14 neg_lo:[0,1] neg_hi:[0,1]
	v_pk_add_f16 v15, v17, v15 neg_lo:[0,1] neg_hi:[0,1]
	;; [unrolled: 1-line block ×6, first 2 shown]
	v_pk_fma_f16 v16, v16, 2.0, v14 op_sel_hi:[1,0,1] neg_lo:[0,0,1] neg_hi:[0,0,1]
	v_pk_fma_f16 v17, v17, 2.0, v15 op_sel_hi:[1,0,1] neg_lo:[0,0,1] neg_hi:[0,0,1]
	;; [unrolled: 1-line block ×6, first 2 shown]
	ds_write2_b32 v41, v16, v14 offset1:16
	ds_write2_b32 v29, v17, v15 offset1:16
	ds_write2_b32 v30, v18, v12 offset1:16
	ds_write2_b32 v31, v19, v13 offset1:16
	ds_write2_b32 v32, v23, v10 offset1:16
	ds_write2_b32 v20, v24, v11 offset1:16
	v_and_b32_e32 v20, 31, v7
	v_lshlrev_b32_e32 v14, 3, v40
	s_waitcnt lgkmcnt(0)
	s_barrier
	buffer_gl0_inv
	s_clause 0x1
	global_load_dwordx2 v[10:11], v28, s[12:13] offset:120
	global_load_dwordx2 v[12:13], v25, s[12:13] offset:120
	v_lshlrev_b32_e32 v16, 3, v20
	s_clause 0x1
	global_load_dwordx2 v[14:15], v14, s[12:13] offset:120
	global_load_dwordx2 v[16:17], v16, s[12:13] offset:120
	v_lshrrev_b32_e32 v18, 5, v3
	v_lshrrev_b32_e32 v24, 5, v8
	v_lshrrev_b32_e32 v29, 5, v7
	v_lshrrev_b32_e32 v23, 5, v4
	v_mul_u32_u24_e32 v18, 0x60, v18
	v_mul_u32_u24_e32 v23, 0x60, v23
	v_or_b32_e32 v33, v18, v38
	ds_read2_b32 v[18:19], v0 offset1:56
	ds_read2_b32 v[7:8], v0 offset0:112 offset1:168
	ds_read2_b32 v[25:26], v9 offset0:48 offset1:104
	v_mul_u32_u24_e32 v9, 0x60, v24
	ds_read2_b32 v[27:28], v21 offset0:80 offset1:136
	v_mul_u32_u24_e32 v24, 0x60, v29
	ds_read2_b32 v[29:30], v22 offset0:96 offset1:152
	ds_read2_b32 v[31:32], v21 offset0:192 offset1:248
	v_or_b32_e32 v23, v23, v39
	v_or_b32_e32 v9, v9, v40
	v_lshl_add_u32 v33, v33, 2, 0
	v_or_b32_e32 v20, v24, v20
	s_waitcnt vmcnt(0) lgkmcnt(0)
	v_lshl_add_u32 v34, v23, 2, 0
	v_lshl_add_u32 v35, v9, 2, 0
	s_barrier
	v_lshl_add_u32 v20, v20, 2, 0
	buffer_gl0_inv
	v_lshrrev_b32_e32 v36, 16, v18
	v_lshrrev_b32_e32 v9, 16, v25
	;; [unrolled: 1-line block ×12, first 2 shown]
	v_mul_f16_sdwa v45, v10, v40 dst_sel:DWORD dst_unused:UNUSED_PAD src0_sel:WORD_1 src1_sel:DWORD
	v_mul_f16_sdwa v46, v10, v29 dst_sel:DWORD dst_unused:UNUSED_PAD src0_sel:WORD_1 src1_sel:DWORD
	;; [unrolled: 1-line block ×10, first 2 shown]
	v_mul_f16_sdwa v55, v9, v15 dst_sel:DWORD dst_unused:UNUSED_PAD src0_sel:DWORD src1_sel:WORD_1
	v_mul_f16_sdwa v56, v25, v15 dst_sel:DWORD dst_unused:UNUSED_PAD src0_sel:DWORD src1_sel:WORD_1
	;; [unrolled: 1-line block ×6, first 2 shown]
	v_fma_f16 v29, v10, v29, -v45
	v_fmac_f16_e32 v46, v10, v40
	v_fma_f16 v10, v11, v31, -v47
	v_fmac_f16_e32 v48, v11, v41
	;; [unrolled: 2-line block ×8, first 2 shown]
	v_add_f16_e32 v17, v29, v10
	v_add_f16_e32 v27, v46, v48
	;; [unrolled: 1-line block ×9, first 2 shown]
	v_sub_f16_e32 v26, v46, v48
	v_add_f16_e32 v25, v36, v46
	v_sub_f16_e32 v28, v29, v10
	v_add_f16_e32 v29, v19, v11
	v_add_f16_e32 v32, v37, v50
	v_sub_f16_e32 v39, v11, v12
	v_add_f16_e32 v11, v7, v13
	v_add_f16_e32 v44, v8, v9
	v_fma_f16 v17, -0.5, v17, v18
	v_fmac_f16_e32 v36, -0.5, v27
	v_sub_f16_e32 v31, v50, v52
	v_fmac_f16_e32 v19, -0.5, v30
	v_fmac_f16_e32 v37, -0.5, v38
	v_sub_f16_e32 v41, v54, v56
	v_add_f16_e32 v42, v23, v54
	v_sub_f16_e32 v13, v13, v14
	v_sub_f16_e32 v46, v58, v60
	v_add_f16_e32 v47, v24, v58
	v_sub_f16_e32 v50, v9, v15
	v_add_f16_e32 v16, v16, v10
	v_fma_f16 v10, -0.5, v40, v7
	v_fmac_f16_e32 v23, -0.5, v43
	v_fmac_f16_e32 v8, -0.5, v45
	;; [unrolled: 1-line block ×3, first 2 shown]
	v_add_f16_e32 v18, v25, v48
	v_add_f16_e32 v27, v29, v12
	;; [unrolled: 1-line block ×5, first 2 shown]
	v_fmamk_f16 v15, v26, 0x3aee, v17
	v_fmamk_f16 v32, v28, 0xbaee, v36
	v_fmac_f16_e32 v17, 0xbaee, v26
	v_fmac_f16_e32 v36, 0x3aee, v28
	v_fmamk_f16 v28, v31, 0x3aee, v19
	v_fmac_f16_e32 v19, 0xbaee, v31
	v_fmamk_f16 v31, v39, 0xbaee, v37
	v_fmac_f16_e32 v37, 0x3aee, v39
	v_add_f16_e32 v30, v42, v56
	v_add_f16_e32 v25, v47, v60
	v_fmamk_f16 v9, v41, 0x3aee, v10
	v_fmamk_f16 v7, v13, 0xbaee, v23
	;; [unrolled: 1-line block ×4, first 2 shown]
	v_fmac_f16_e32 v10, 0xbaee, v41
	v_fmac_f16_e32 v23, 0x3aee, v13
	;; [unrolled: 1-line block ×4, first 2 shown]
	v_pack_b32_f16 v13, v16, v18
	v_pack_b32_f16 v15, v15, v32
	;; [unrolled: 1-line block ×12, first 2 shown]
	ds_write2_b32 v33, v13, v15 offset1:32
	ds_write_b32 v33, v17 offset:256
	ds_write2_b32 v34, v16, v27 offset1:32
	ds_write_b32 v34, v19 offset:256
	;; [unrolled: 2-line block ×4, first 2 shown]
	s_waitcnt lgkmcnt(0)
	s_barrier
	buffer_gl0_inv
	ds_read2_b32 v[15:16], v0 offset1:96
	ds_read2_b32 v[19:20], v22 offset0:64 offset1:160
	ds_read2_b32 v[17:18], v21 offset0:128 offset1:224
	ds_read_b32 v30, v0 offset:2304
                                        ; implicit-def: $vgpr27
                                        ; implicit-def: $vgpr28
                                        ; implicit-def: $vgpr29
                                        ; implicit-def: $vgpr14
	s_and_saveexec_b32 s1, s0
	s_cbranch_execz .LBB0_21
; %bb.20:
	v_add_nc_u32_e32 v7, 0x600, v0
	ds_read2_b32 v[9:10], v0 offset0:56 offset1:152
	ds_read2_b32 v[11:12], v22 offset0:120 offset1:216
	ds_read_b32 v28, v0 offset:2528
	ds_read2_b32 v[13:14], v7 offset0:56 offset1:152
	ds_read_u16 v25, v0 offset:994
	s_waitcnt lgkmcnt(4)
	v_lshrrev_b32_e32 v7, 16, v9
	s_waitcnt lgkmcnt(3)
	v_lshrrev_b32_e32 v26, 16, v12
	;; [unrolled: 2-line block ×3, first 2 shown]
	v_lshrrev_b32_e32 v23, 16, v10
	s_waitcnt lgkmcnt(1)
	v_lshrrev_b32_e32 v24, 16, v13
	v_lshrrev_b32_e32 v29, 16, v14
	v_mov_b32_e32 v8, v13
.LBB0_21:
	s_or_b32 exec_lo, exec_lo, s1
	v_mul_u32_u24_e32 v13, 6, v3
	s_waitcnt lgkmcnt(1)
	v_lshrrev_b32_e32 v37, 16, v18
	v_lshrrev_b32_e32 v39, 16, v16
	;; [unrolled: 1-line block ×4, first 2 shown]
	v_lshlrev_b32_e32 v13, 2, v13
	v_lshrrev_b32_e32 v40, 16, v20
	s_clause 0x1
	global_load_dwordx4 v[31:34], v13, s[12:13] offset:376
	global_load_dwordx2 v[35:36], v13, s[12:13] offset:392
	s_waitcnt lgkmcnt(0)
	v_lshrrev_b32_e32 v13, 16, v30
	s_waitcnt vmcnt(0)
	s_barrier
	buffer_gl0_inv
	v_mul_f16_sdwa v42, v31, v39 dst_sel:DWORD dst_unused:UNUSED_PAD src0_sel:WORD_1 src1_sel:DWORD
	v_mul_f16_sdwa v43, v31, v16 dst_sel:DWORD dst_unused:UNUSED_PAD src0_sel:WORD_1 src1_sel:DWORD
	;; [unrolled: 1-line block ×12, first 2 shown]
	v_fma_f16 v16, v31, v16, -v42
	v_fmac_f16_e32 v43, v31, v39
	v_fma_f16 v19, v32, v19, -v44
	v_fmac_f16_e32 v45, v32, v41
	;; [unrolled: 2-line block ×6, first 2 shown]
	v_add_f16_e32 v18, v16, v30
	v_add_f16_e32 v31, v43, v53
	v_add_f16_e32 v32, v19, v13
	v_add_f16_e32 v33, v45, v51
	v_sub_f16_e32 v16, v16, v30
	v_sub_f16_e32 v30, v43, v53
	;; [unrolled: 1-line block ×4, first 2 shown]
	v_add_f16_e32 v34, v20, v17
	v_add_f16_e32 v35, v47, v49
	v_sub_f16_e32 v17, v17, v20
	v_sub_f16_e32 v20, v49, v47
	v_add_f16_e32 v36, v32, v18
	v_add_f16_e32 v37, v33, v31
	v_sub_f16_e32 v38, v32, v18
	v_sub_f16_e32 v39, v33, v31
	;; [unrolled: 1-line block ×6, first 2 shown]
	v_add_f16_e32 v40, v17, v13
	v_add_f16_e32 v41, v20, v19
	v_sub_f16_e32 v42, v17, v13
	v_sub_f16_e32 v43, v20, v19
	;; [unrolled: 1-line block ×4, first 2 shown]
	v_add_f16_e32 v34, v34, v36
	v_add_f16_e32 v35, v35, v37
	v_sub_f16_e32 v17, v16, v17
	v_sub_f16_e32 v20, v30, v20
	v_add_f16_e32 v16, v40, v16
	v_add_f16_e32 v30, v41, v30
	v_mul_f16_e32 v18, 0x3a52, v18
	v_mul_f16_e32 v31, 0x3a52, v31
	;; [unrolled: 1-line block ×8, first 2 shown]
	v_add_f16_e32 v44, v34, v15
	v_add_f16_sdwa v15, v35, v15 dst_sel:DWORD dst_unused:UNUSED_PAD src0_sel:DWORD src1_sel:WORD_1
	v_fmamk_f16 v32, v32, 0x2b26, v18
	v_fmamk_f16 v33, v33, 0x2b26, v31
	v_fma_f16 v36, v38, 0x39e0, -v36
	v_fma_f16 v37, v39, 0x39e0, -v37
	;; [unrolled: 1-line block ×4, first 2 shown]
	v_fmamk_f16 v38, v17, 0x3574, v40
	v_fmamk_f16 v39, v20, 0x3574, v41
	v_fma_f16 v13, v13, 0x3b00, -v40
	v_fma_f16 v19, v19, 0x3b00, -v41
	;; [unrolled: 1-line block ×4, first 2 shown]
	v_fmamk_f16 v34, v34, 0xbcab, v44
	v_fmamk_f16 v35, v35, 0xbcab, v15
	v_fmac_f16_e32 v38, 0x370e, v16
	v_fmac_f16_e32 v39, 0x370e, v30
	v_fmac_f16_e32 v13, 0x370e, v16
	v_fmac_f16_e32 v19, 0x370e, v30
	v_fmac_f16_e32 v17, 0x370e, v16
	v_fmac_f16_e32 v20, 0x370e, v30
	v_add_f16_e32 v16, v32, v34
	v_add_f16_e32 v30, v33, v35
	;; [unrolled: 1-line block ×7, first 2 shown]
	v_sub_f16_e32 v35, v30, v38
	v_add_f16_e32 v36, v20, v18
	v_sub_f16_e32 v37, v31, v17
	v_sub_f16_e32 v40, v32, v19
	v_add_f16_e32 v41, v13, v33
	v_add_f16_e32 v19, v19, v32
	v_sub_f16_e32 v13, v33, v13
	v_sub_f16_e32 v18, v18, v20
	v_add_f16_e32 v17, v17, v31
	v_sub_f16_e32 v16, v16, v39
	v_add_f16_e32 v20, v38, v30
	v_pack_b32_f16 v15, v44, v15
	v_pack_b32_f16 v30, v34, v35
	;; [unrolled: 1-line block ×7, first 2 shown]
	ds_write2_b32 v0, v15, v30 offset1:96
	ds_write2_b32 v22, v31, v32 offset0:64 offset1:160
	ds_write2_b32 v21, v13, v17 offset0:128 offset1:224
	ds_write_b32 v0, v16 offset:2304
	s_and_saveexec_b32 s1, s0
	s_cbranch_execz .LBB0_23
; %bb.22:
	v_subrev_nc_u32_e32 v13, 40, v3
	v_mov_b32_e32 v16, 0
	v_cndmask_b32_e64 v4, v13, v4, s0
	v_add_nc_u32_e32 v13, 0x600, v0
	v_mul_i32_i24_e32 v15, 6, v4
	v_add_nc_u32_e32 v4, 0x200, v0
	v_lshlrev_b64 v[15:16], 2, v[15:16]
	v_add_co_u32 v19, s0, s12, v15
	v_add_co_ci_u32_e64 v20, s0, s13, v16, s0
	s_clause 0x1
	global_load_dwordx4 v[15:18], v[19:20], off offset:376
	global_load_dwordx2 v[19:20], v[19:20], off offset:392
	s_waitcnt vmcnt(1)
	v_mul_f16_sdwa v21, v23, v15 dst_sel:DWORD dst_unused:UNUSED_PAD src0_sel:DWORD src1_sel:WORD_1
	s_waitcnt vmcnt(0)
	v_mul_f16_sdwa v22, v27, v20 dst_sel:DWORD dst_unused:UNUSED_PAD src0_sel:DWORD src1_sel:WORD_1
	v_mul_f16_sdwa v32, v25, v16 dst_sel:DWORD dst_unused:UNUSED_PAD src0_sel:DWORD src1_sel:WORD_1
	;; [unrolled: 1-line block ×11, first 2 shown]
	v_fma_f16 v10, v10, v15, -v21
	v_fma_f16 v21, v28, v20, -v22
	;; [unrolled: 1-line block ×4, first 2 shown]
	v_fmac_f16_e32 v34, v27, v20
	v_fmac_f16_e32 v35, v23, v15
	;; [unrolled: 1-line block ×4, first 2 shown]
	v_fma_f16 v8, v8, v18, -v30
	v_fma_f16 v12, v12, v17, -v31
	v_fmac_f16_e32 v36, v26, v17
	v_fmac_f16_e32 v37, v24, v18
	v_sub_f16_e32 v15, v10, v21
	v_sub_f16_e32 v17, v11, v14
	v_add_f16_e32 v18, v35, v34
	v_add_f16_e32 v20, v39, v38
	;; [unrolled: 1-line block ×4, first 2 shown]
	v_sub_f16_e32 v16, v8, v12
	v_add_f16_e32 v19, v36, v37
	v_add_f16_e32 v8, v12, v8
	v_sub_f16_e32 v12, v35, v34
	v_sub_f16_e32 v14, v37, v36
	;; [unrolled: 1-line block ×3, first 2 shown]
	v_add_f16_e32 v26, v20, v18
	v_add_f16_e32 v29, v11, v10
	v_sub_f16_e32 v22, v15, v16
	v_sub_f16_e32 v23, v16, v17
	v_add_f16_e32 v16, v16, v17
	v_sub_f16_e32 v24, v18, v19
	v_sub_f16_e32 v25, v19, v20
	;; [unrolled: 1-line block ×6, first 2 shown]
	v_add_f16_e32 v14, v14, v21
	v_sub_f16_e32 v17, v17, v15
	v_sub_f16_e32 v10, v11, v10
	;; [unrolled: 1-line block ×3, first 2 shown]
	v_add_f16_e32 v19, v19, v26
	v_add_f16_e32 v8, v8, v29
	v_sub_f16_e32 v18, v20, v18
	v_mul_f16_e32 v20, 0xb846, v23
	v_add_f16_e32 v15, v16, v15
	v_mul_f16_e32 v16, 0x3a52, v24
	v_mul_f16_e32 v23, 0x3a52, v27
	;; [unrolled: 1-line block ×3, first 2 shown]
	v_add_f16_e32 v12, v14, v12
	v_mul_f16_e32 v14, 0x3b00, v17
	v_mul_f16_e32 v27, 0x3b00, v11
	v_add_f16_e32 v7, v7, v19
	v_add_f16_e32 v9, v9, v8
	v_mul_f16_e32 v21, 0x2b26, v25
	v_mul_f16_e32 v24, 0x2b26, v28
	v_fmamk_f16 v29, v22, 0x3574, v20
	v_fmamk_f16 v25, v25, 0x2b26, v16
	;; [unrolled: 1-line block ×4, first 2 shown]
	v_fma_f16 v14, v22, 0xb574, -v14
	v_fma_f16 v22, v10, 0xb9e0, -v23
	;; [unrolled: 1-line block ×4, first 2 shown]
	v_fmamk_f16 v19, v19, 0xbcab, v7
	v_fmamk_f16 v8, v8, 0xbcab, v9
	v_fma_f16 v16, v18, 0xb9e0, -v16
	v_fma_f16 v18, v18, 0x39e0, -v21
	;; [unrolled: 1-line block ×4, first 2 shown]
	v_fmac_f16_e32 v29, 0x370e, v15
	v_fmac_f16_e32 v31, 0x370e, v12
	;; [unrolled: 1-line block ×4, first 2 shown]
	v_pack_b32_f16 v7, v9, v7
	v_add_f16_e32 v9, v25, v19
	v_add_f16_e32 v12, v28, v8
	v_fmac_f16_e32 v14, 0x370e, v15
	v_fmac_f16_e32 v17, 0x370e, v15
	v_add_f16_e32 v15, v16, v19
	v_add_f16_e32 v16, v22, v8
	;; [unrolled: 1-line block ×5, first 2 shown]
	v_sub_f16_e32 v19, v12, v31
	v_sub_f16_e32 v9, v9, v29
	v_add_f16_e32 v12, v31, v12
	v_add_f16_e32 v20, v14, v15
	v_sub_f16_e32 v21, v18, v17
	v_add_f16_e32 v17, v17, v18
	v_sub_f16_e32 v14, v15, v14
	;; [unrolled: 2-line block ×4, first 2 shown]
	v_pack_b32_f16 v9, v12, v9
	v_pack_b32_f16 v12, v15, v14
	;; [unrolled: 1-line block ×6, first 2 shown]
	ds_write2_b32 v0, v7, v9 offset0:56 offset1:152
	ds_write2_b32 v4, v12, v14 offset0:120 offset1:216
	;; [unrolled: 1-line block ×3, first 2 shown]
	ds_write_b32 v0, v10 offset:2528
.LBB0_23:
	s_or_b32 exec_lo, exec_lo, s1
	s_waitcnt lgkmcnt(0)
	s_barrier
	buffer_gl0_inv
	s_and_saveexec_b32 s0, vcc_lo
	s_cbranch_execz .LBB0_25
; %bb.24:
	v_mul_lo_u32 v0, s3, v5
	v_mul_lo_u32 v7, s2, v6
	v_mad_u64_u32 v[5:6], null, s2, v5, 0
	v_lshl_add_u32 v19, v3, 2, 0
	v_mov_b32_e32 v4, 0
	v_add_nc_u32_e32 v9, 0x70, v3
	ds_read2_b32 v[11:12], v19 offset1:56
	v_add3_u32 v6, v6, v7, v0
	v_lshlrev_b64 v[0:1], 2, v[1:2]
	v_add_nc_u32_e32 v7, 56, v3
	v_mov_b32_e32 v8, v4
	ds_read2_b32 v[15:16], v19 offset0:112 offset1:168
	v_lshlrev_b64 v[5:6], 2, v[5:6]
	v_lshlrev_b64 v[13:14], 2, v[3:4]
	v_mov_b32_e32 v10, v4
	v_mov_b32_e32 v18, v4
	v_add_co_u32 v2, vcc_lo, s10, v5
	v_add_co_ci_u32_e32 v17, vcc_lo, s11, v6, vcc_lo
	v_lshlrev_b64 v[5:6], 2, v[7:8]
	v_add_co_u32 v20, vcc_lo, v2, v0
	v_add_co_ci_u32_e32 v21, vcc_lo, v17, v1, vcc_lo
	v_lshlrev_b64 v[0:1], 2, v[9:10]
	v_add_co_u32 v7, vcc_lo, v20, v13
	v_add_co_ci_u32_e32 v8, vcc_lo, v21, v14, vcc_lo
	v_add_co_u32 v5, vcc_lo, v20, v5
	v_add_co_ci_u32_e32 v6, vcc_lo, v21, v6, vcc_lo
	v_add_co_u32 v0, vcc_lo, v20, v0
	v_add_co_ci_u32_e32 v1, vcc_lo, v21, v1, vcc_lo
	v_add_nc_u32_e32 v9, 0xa8, v3
	v_add_nc_u32_e32 v2, 0x200, v19
	s_waitcnt lgkmcnt(1)
	global_store_dword v[7:8], v11, off
	global_store_dword v[5:6], v12, off
	s_waitcnt lgkmcnt(0)
	global_store_dword v[0:1], v15, off
	v_add_nc_u32_e32 v15, 0x400, v19
	v_add_nc_u32_e32 v5, 0xe0, v3
	v_mov_b32_e32 v6, v4
	v_lshlrev_b64 v[0:1], 2, v[9:10]
	ds_read2_b32 v[9:10], v2 offset0:96 offset1:152
	v_add_nc_u32_e32 v7, 0x118, v3
	v_mov_b32_e32 v8, v4
	ds_read2_b32 v[13:14], v15 offset0:80 offset1:136
	v_lshlrev_b64 v[5:6], 2, v[5:6]
	v_add_nc_u32_e32 v11, 0x150, v3
	v_mov_b32_e32 v12, v4
	v_add_co_u32 v0, vcc_lo, v20, v0
	v_lshlrev_b64 v[7:8], 2, v[7:8]
	v_add_co_ci_u32_e32 v1, vcc_lo, v21, v1, vcc_lo
	v_add_co_u32 v5, vcc_lo, v20, v5
	v_lshlrev_b64 v[11:12], 2, v[11:12]
	v_add_co_ci_u32_e32 v6, vcc_lo, v21, v6, vcc_lo
	v_add_co_u32 v7, vcc_lo, v20, v7
	v_add_co_ci_u32_e32 v8, vcc_lo, v21, v8, vcc_lo
	v_add_co_u32 v11, vcc_lo, v20, v11
	v_add_nc_u32_e32 v17, 0x188, v3
	v_add_co_ci_u32_e32 v12, vcc_lo, v21, v12, vcc_lo
	global_store_dword v[0:1], v16, off
	s_waitcnt lgkmcnt(1)
	global_store_dword v[5:6], v9, off
	global_store_dword v[7:8], v10, off
	s_waitcnt lgkmcnt(0)
	global_store_dword v[11:12], v13, off
	v_add_nc_u32_e32 v5, 0x1c0, v3
	v_mov_b32_e32 v6, v4
	v_add_nc_u32_e32 v2, 0x800, v19
	v_lshlrev_b64 v[0:1], 2, v[17:18]
	v_add_nc_u32_e32 v7, 0x1f8, v3
	v_mov_b32_e32 v8, v4
	ds_read2_b32 v[9:10], v15 offset0:192 offset1:248
	v_lshlrev_b64 v[5:6], 2, v[5:6]
	v_add_nc_u32_e32 v11, 0x230, v3
	v_mov_b32_e32 v12, v4
	ds_read2_b32 v[15:16], v2 offset0:48 offset1:104
	v_add_co_u32 v0, vcc_lo, v20, v0
	v_lshlrev_b64 v[7:8], 2, v[7:8]
	v_add_nc_u32_e32 v3, 0x268, v3
	v_add_co_ci_u32_e32 v1, vcc_lo, v21, v1, vcc_lo
	v_add_co_u32 v5, vcc_lo, v20, v5
	v_lshlrev_b64 v[11:12], 2, v[11:12]
	v_add_co_ci_u32_e32 v6, vcc_lo, v21, v6, vcc_lo
	v_add_co_u32 v7, vcc_lo, v20, v7
	v_lshlrev_b64 v[2:3], 2, v[3:4]
	v_add_co_ci_u32_e32 v8, vcc_lo, v21, v8, vcc_lo
	v_add_co_u32 v11, vcc_lo, v20, v11
	v_add_co_ci_u32_e32 v12, vcc_lo, v21, v12, vcc_lo
	v_add_co_u32 v2, vcc_lo, v20, v2
	v_add_co_ci_u32_e32 v3, vcc_lo, v21, v3, vcc_lo
	global_store_dword v[0:1], v14, off
	s_waitcnt lgkmcnt(1)
	global_store_dword v[5:6], v9, off
	global_store_dword v[7:8], v10, off
	s_waitcnt lgkmcnt(0)
	global_store_dword v[11:12], v15, off
	global_store_dword v[2:3], v16, off
.LBB0_25:
	s_endpgm
	.section	.rodata,"a",@progbits
	.p2align	6, 0x0
	.amdhsa_kernel fft_rtc_fwd_len672_factors_2_2_2_2_2_3_7_wgs_56_tpt_56_halfLds_half_op_CI_CI_unitstride_sbrr_C2R_dirReg
		.amdhsa_group_segment_fixed_size 0
		.amdhsa_private_segment_fixed_size 0
		.amdhsa_kernarg_size 104
		.amdhsa_user_sgpr_count 6
		.amdhsa_user_sgpr_private_segment_buffer 1
		.amdhsa_user_sgpr_dispatch_ptr 0
		.amdhsa_user_sgpr_queue_ptr 0
		.amdhsa_user_sgpr_kernarg_segment_ptr 1
		.amdhsa_user_sgpr_dispatch_id 0
		.amdhsa_user_sgpr_flat_scratch_init 0
		.amdhsa_user_sgpr_private_segment_size 0
		.amdhsa_wavefront_size32 1
		.amdhsa_uses_dynamic_stack 0
		.amdhsa_system_sgpr_private_segment_wavefront_offset 0
		.amdhsa_system_sgpr_workgroup_id_x 1
		.amdhsa_system_sgpr_workgroup_id_y 0
		.amdhsa_system_sgpr_workgroup_id_z 0
		.amdhsa_system_sgpr_workgroup_info 0
		.amdhsa_system_vgpr_workitem_id 0
		.amdhsa_next_free_vgpr 61
		.amdhsa_next_free_sgpr 27
		.amdhsa_reserve_vcc 1
		.amdhsa_reserve_flat_scratch 0
		.amdhsa_float_round_mode_32 0
		.amdhsa_float_round_mode_16_64 0
		.amdhsa_float_denorm_mode_32 3
		.amdhsa_float_denorm_mode_16_64 3
		.amdhsa_dx10_clamp 1
		.amdhsa_ieee_mode 1
		.amdhsa_fp16_overflow 0
		.amdhsa_workgroup_processor_mode 1
		.amdhsa_memory_ordered 1
		.amdhsa_forward_progress 0
		.amdhsa_shared_vgpr_count 0
		.amdhsa_exception_fp_ieee_invalid_op 0
		.amdhsa_exception_fp_denorm_src 0
		.amdhsa_exception_fp_ieee_div_zero 0
		.amdhsa_exception_fp_ieee_overflow 0
		.amdhsa_exception_fp_ieee_underflow 0
		.amdhsa_exception_fp_ieee_inexact 0
		.amdhsa_exception_int_div_zero 0
	.end_amdhsa_kernel
	.text
.Lfunc_end0:
	.size	fft_rtc_fwd_len672_factors_2_2_2_2_2_3_7_wgs_56_tpt_56_halfLds_half_op_CI_CI_unitstride_sbrr_C2R_dirReg, .Lfunc_end0-fft_rtc_fwd_len672_factors_2_2_2_2_2_3_7_wgs_56_tpt_56_halfLds_half_op_CI_CI_unitstride_sbrr_C2R_dirReg
                                        ; -- End function
	.section	.AMDGPU.csdata,"",@progbits
; Kernel info:
; codeLenInByte = 8820
; NumSgprs: 29
; NumVgprs: 61
; ScratchSize: 0
; MemoryBound: 0
; FloatMode: 240
; IeeeMode: 1
; LDSByteSize: 0 bytes/workgroup (compile time only)
; SGPRBlocks: 3
; VGPRBlocks: 7
; NumSGPRsForWavesPerEU: 29
; NumVGPRsForWavesPerEU: 61
; Occupancy: 16
; WaveLimiterHint : 1
; COMPUTE_PGM_RSRC2:SCRATCH_EN: 0
; COMPUTE_PGM_RSRC2:USER_SGPR: 6
; COMPUTE_PGM_RSRC2:TRAP_HANDLER: 0
; COMPUTE_PGM_RSRC2:TGID_X_EN: 1
; COMPUTE_PGM_RSRC2:TGID_Y_EN: 0
; COMPUTE_PGM_RSRC2:TGID_Z_EN: 0
; COMPUTE_PGM_RSRC2:TIDIG_COMP_CNT: 0
	.text
	.p2alignl 6, 3214868480
	.fill 48, 4, 3214868480
	.type	__hip_cuid_5bd4dc173bf8a335,@object ; @__hip_cuid_5bd4dc173bf8a335
	.section	.bss,"aw",@nobits
	.globl	__hip_cuid_5bd4dc173bf8a335
__hip_cuid_5bd4dc173bf8a335:
	.byte	0                               ; 0x0
	.size	__hip_cuid_5bd4dc173bf8a335, 1

	.ident	"AMD clang version 19.0.0git (https://github.com/RadeonOpenCompute/llvm-project roc-6.4.0 25133 c7fe45cf4b819c5991fe208aaa96edf142730f1d)"
	.section	".note.GNU-stack","",@progbits
	.addrsig
	.addrsig_sym __hip_cuid_5bd4dc173bf8a335
	.amdgpu_metadata
---
amdhsa.kernels:
  - .args:
      - .actual_access:  read_only
        .address_space:  global
        .offset:         0
        .size:           8
        .value_kind:     global_buffer
      - .offset:         8
        .size:           8
        .value_kind:     by_value
      - .actual_access:  read_only
        .address_space:  global
        .offset:         16
        .size:           8
        .value_kind:     global_buffer
      - .actual_access:  read_only
        .address_space:  global
        .offset:         24
        .size:           8
        .value_kind:     global_buffer
      - .actual_access:  read_only
        .address_space:  global
        .offset:         32
        .size:           8
        .value_kind:     global_buffer
      - .offset:         40
        .size:           8
        .value_kind:     by_value
      - .actual_access:  read_only
        .address_space:  global
        .offset:         48
        .size:           8
        .value_kind:     global_buffer
      - .actual_access:  read_only
        .address_space:  global
        .offset:         56
        .size:           8
        .value_kind:     global_buffer
      - .offset:         64
        .size:           4
        .value_kind:     by_value
      - .actual_access:  read_only
        .address_space:  global
        .offset:         72
        .size:           8
        .value_kind:     global_buffer
      - .actual_access:  read_only
        .address_space:  global
        .offset:         80
        .size:           8
        .value_kind:     global_buffer
      - .actual_access:  read_only
        .address_space:  global
        .offset:         88
        .size:           8
        .value_kind:     global_buffer
      - .actual_access:  write_only
        .address_space:  global
        .offset:         96
        .size:           8
        .value_kind:     global_buffer
    .group_segment_fixed_size: 0
    .kernarg_segment_align: 8
    .kernarg_segment_size: 104
    .language:       OpenCL C
    .language_version:
      - 2
      - 0
    .max_flat_workgroup_size: 56
    .name:           fft_rtc_fwd_len672_factors_2_2_2_2_2_3_7_wgs_56_tpt_56_halfLds_half_op_CI_CI_unitstride_sbrr_C2R_dirReg
    .private_segment_fixed_size: 0
    .sgpr_count:     29
    .sgpr_spill_count: 0
    .symbol:         fft_rtc_fwd_len672_factors_2_2_2_2_2_3_7_wgs_56_tpt_56_halfLds_half_op_CI_CI_unitstride_sbrr_C2R_dirReg.kd
    .uniform_work_group_size: 1
    .uses_dynamic_stack: false
    .vgpr_count:     61
    .vgpr_spill_count: 0
    .wavefront_size: 32
    .workgroup_processor_mode: 1
amdhsa.target:   amdgcn-amd-amdhsa--gfx1030
amdhsa.version:
  - 1
  - 2
...

	.end_amdgpu_metadata
